;; amdgpu-corpus repo=ROCm/rocFFT kind=compiled arch=gfx1030 opt=O3
	.text
	.amdgcn_target "amdgcn-amd-amdhsa--gfx1030"
	.amdhsa_code_object_version 6
	.protected	fft_rtc_fwd_len540_factors_3_10_6_3_wgs_216_tpt_54_halfLds_half_ip_CI_unitstride_sbrr_C2R_dirReg ; -- Begin function fft_rtc_fwd_len540_factors_3_10_6_3_wgs_216_tpt_54_halfLds_half_ip_CI_unitstride_sbrr_C2R_dirReg
	.globl	fft_rtc_fwd_len540_factors_3_10_6_3_wgs_216_tpt_54_halfLds_half_ip_CI_unitstride_sbrr_C2R_dirReg
	.p2align	8
	.type	fft_rtc_fwd_len540_factors_3_10_6_3_wgs_216_tpt_54_halfLds_half_ip_CI_unitstride_sbrr_C2R_dirReg,@function
fft_rtc_fwd_len540_factors_3_10_6_3_wgs_216_tpt_54_halfLds_half_ip_CI_unitstride_sbrr_C2R_dirReg: ; @fft_rtc_fwd_len540_factors_3_10_6_3_wgs_216_tpt_54_halfLds_half_ip_CI_unitstride_sbrr_C2R_dirReg
; %bb.0:
	s_clause 0x2
	s_load_dwordx4 s[8:11], s[4:5], 0x0
	s_load_dwordx2 s[12:13], s[4:5], 0x50
	s_load_dwordx2 s[2:3], s[4:5], 0x18
	v_mul_u32_u24_e32 v1, 0x4be, v0
	v_mov_b32_e32 v3, 0
	v_lshrrev_b32_e32 v9, 16, v1
	v_mov_b32_e32 v1, 0
	v_mov_b32_e32 v6, v3
	v_mov_b32_e32 v2, 0
	v_lshl_add_u32 v5, s6, 2, v9
	s_waitcnt lgkmcnt(0)
	v_cmp_lt_u64_e64 s0, s[10:11], 2
	s_and_b32 vcc_lo, exec_lo, s0
	s_cbranch_vccnz .LBB0_8
; %bb.1:
	s_load_dwordx2 s[0:1], s[4:5], 0x10
	v_mov_b32_e32 v1, 0
	s_add_u32 s6, s2, 8
	v_mov_b32_e32 v2, 0
	s_addc_u32 s7, s3, 0
	s_mov_b64 s[16:17], 1
	s_waitcnt lgkmcnt(0)
	s_add_u32 s14, s0, 8
	s_addc_u32 s15, s1, 0
.LBB0_2:                                ; =>This Inner Loop Header: Depth=1
	s_load_dwordx2 s[18:19], s[14:15], 0x0
                                        ; implicit-def: $vgpr7_vgpr8
	s_mov_b32 s0, exec_lo
	s_waitcnt lgkmcnt(0)
	v_or_b32_e32 v4, s19, v6
	v_cmpx_ne_u64_e32 0, v[3:4]
	s_xor_b32 s1, exec_lo, s0
	s_cbranch_execz .LBB0_4
; %bb.3:                                ;   in Loop: Header=BB0_2 Depth=1
	v_cvt_f32_u32_e32 v4, s18
	v_cvt_f32_u32_e32 v7, s19
	s_sub_u32 s0, 0, s18
	s_subb_u32 s20, 0, s19
	v_fmac_f32_e32 v4, 0x4f800000, v7
	v_rcp_f32_e32 v4, v4
	v_mul_f32_e32 v4, 0x5f7ffffc, v4
	v_mul_f32_e32 v7, 0x2f800000, v4
	v_trunc_f32_e32 v7, v7
	v_fmac_f32_e32 v4, 0xcf800000, v7
	v_cvt_u32_f32_e32 v7, v7
	v_cvt_u32_f32_e32 v4, v4
	v_mul_lo_u32 v8, s0, v7
	v_mul_hi_u32 v10, s0, v4
	v_mul_lo_u32 v11, s20, v4
	v_add_nc_u32_e32 v8, v10, v8
	v_mul_lo_u32 v10, s0, v4
	v_add_nc_u32_e32 v8, v8, v11
	v_mul_hi_u32 v11, v4, v10
	v_mul_lo_u32 v12, v4, v8
	v_mul_hi_u32 v13, v4, v8
	v_mul_hi_u32 v14, v7, v10
	v_mul_lo_u32 v10, v7, v10
	v_mul_hi_u32 v15, v7, v8
	v_mul_lo_u32 v8, v7, v8
	v_add_co_u32 v11, vcc_lo, v11, v12
	v_add_co_ci_u32_e32 v12, vcc_lo, 0, v13, vcc_lo
	v_add_co_u32 v10, vcc_lo, v11, v10
	v_add_co_ci_u32_e32 v10, vcc_lo, v12, v14, vcc_lo
	v_add_co_ci_u32_e32 v11, vcc_lo, 0, v15, vcc_lo
	v_add_co_u32 v8, vcc_lo, v10, v8
	v_add_co_ci_u32_e32 v10, vcc_lo, 0, v11, vcc_lo
	v_add_co_u32 v4, vcc_lo, v4, v8
	v_add_co_ci_u32_e32 v7, vcc_lo, v7, v10, vcc_lo
	v_mul_hi_u32 v8, s0, v4
	v_mul_lo_u32 v11, s20, v4
	v_mul_lo_u32 v10, s0, v7
	v_add_nc_u32_e32 v8, v8, v10
	v_mul_lo_u32 v10, s0, v4
	v_add_nc_u32_e32 v8, v8, v11
	v_mul_hi_u32 v11, v4, v10
	v_mul_lo_u32 v12, v4, v8
	v_mul_hi_u32 v13, v4, v8
	v_mul_hi_u32 v14, v7, v10
	v_mul_lo_u32 v10, v7, v10
	v_mul_hi_u32 v15, v7, v8
	v_mul_lo_u32 v8, v7, v8
	v_add_co_u32 v11, vcc_lo, v11, v12
	v_add_co_ci_u32_e32 v12, vcc_lo, 0, v13, vcc_lo
	v_add_co_u32 v10, vcc_lo, v11, v10
	v_add_co_ci_u32_e32 v10, vcc_lo, v12, v14, vcc_lo
	v_add_co_ci_u32_e32 v11, vcc_lo, 0, v15, vcc_lo
	v_add_co_u32 v8, vcc_lo, v10, v8
	v_add_co_ci_u32_e32 v10, vcc_lo, 0, v11, vcc_lo
	v_add_co_u32 v4, vcc_lo, v4, v8
	v_add_co_ci_u32_e32 v12, vcc_lo, v7, v10, vcc_lo
	v_mul_hi_u32 v14, v5, v4
	v_mad_u64_u32 v[10:11], null, v6, v4, 0
	v_mad_u64_u32 v[7:8], null, v5, v12, 0
	;; [unrolled: 1-line block ×3, first 2 shown]
	v_add_co_u32 v4, vcc_lo, v14, v7
	v_add_co_ci_u32_e32 v7, vcc_lo, 0, v8, vcc_lo
	v_add_co_u32 v4, vcc_lo, v4, v10
	v_add_co_ci_u32_e32 v4, vcc_lo, v7, v11, vcc_lo
	v_add_co_ci_u32_e32 v7, vcc_lo, 0, v13, vcc_lo
	v_add_co_u32 v4, vcc_lo, v4, v12
	v_add_co_ci_u32_e32 v10, vcc_lo, 0, v7, vcc_lo
	v_mul_lo_u32 v11, s19, v4
	v_mad_u64_u32 v[7:8], null, s18, v4, 0
	v_mul_lo_u32 v12, s18, v10
	v_sub_co_u32 v7, vcc_lo, v5, v7
	v_add3_u32 v8, v8, v12, v11
	v_sub_nc_u32_e32 v11, v6, v8
	v_subrev_co_ci_u32_e64 v11, s0, s19, v11, vcc_lo
	v_add_co_u32 v12, s0, v4, 2
	v_add_co_ci_u32_e64 v13, s0, 0, v10, s0
	v_sub_co_u32 v14, s0, v7, s18
	v_sub_co_ci_u32_e32 v8, vcc_lo, v6, v8, vcc_lo
	v_subrev_co_ci_u32_e64 v11, s0, 0, v11, s0
	v_cmp_le_u32_e32 vcc_lo, s18, v14
	v_cmp_eq_u32_e64 s0, s19, v8
	v_cndmask_b32_e64 v14, 0, -1, vcc_lo
	v_cmp_le_u32_e32 vcc_lo, s19, v11
	v_cndmask_b32_e64 v15, 0, -1, vcc_lo
	v_cmp_le_u32_e32 vcc_lo, s18, v7
	;; [unrolled: 2-line block ×3, first 2 shown]
	v_cndmask_b32_e64 v16, 0, -1, vcc_lo
	v_cmp_eq_u32_e32 vcc_lo, s19, v11
	v_cndmask_b32_e64 v7, v16, v7, s0
	v_cndmask_b32_e32 v11, v15, v14, vcc_lo
	v_add_co_u32 v14, vcc_lo, v4, 1
	v_add_co_ci_u32_e32 v15, vcc_lo, 0, v10, vcc_lo
	v_cmp_ne_u32_e32 vcc_lo, 0, v11
	v_cndmask_b32_e32 v8, v15, v13, vcc_lo
	v_cndmask_b32_e32 v11, v14, v12, vcc_lo
	v_cmp_ne_u32_e32 vcc_lo, 0, v7
	v_cndmask_b32_e32 v8, v10, v8, vcc_lo
	v_cndmask_b32_e32 v7, v4, v11, vcc_lo
.LBB0_4:                                ;   in Loop: Header=BB0_2 Depth=1
	s_andn2_saveexec_b32 s0, s1
	s_cbranch_execz .LBB0_6
; %bb.5:                                ;   in Loop: Header=BB0_2 Depth=1
	v_cvt_f32_u32_e32 v4, s18
	s_sub_i32 s1, 0, s18
	v_rcp_iflag_f32_e32 v4, v4
	v_mul_f32_e32 v4, 0x4f7ffffe, v4
	v_cvt_u32_f32_e32 v4, v4
	v_mul_lo_u32 v7, s1, v4
	v_mul_hi_u32 v7, v4, v7
	v_add_nc_u32_e32 v4, v4, v7
	v_mul_hi_u32 v4, v5, v4
	v_mul_lo_u32 v7, v4, s18
	v_add_nc_u32_e32 v8, 1, v4
	v_sub_nc_u32_e32 v7, v5, v7
	v_subrev_nc_u32_e32 v10, s18, v7
	v_cmp_le_u32_e32 vcc_lo, s18, v7
	v_cndmask_b32_e32 v7, v7, v10, vcc_lo
	v_cndmask_b32_e32 v4, v4, v8, vcc_lo
	v_cmp_le_u32_e32 vcc_lo, s18, v7
	v_add_nc_u32_e32 v8, 1, v4
	v_cndmask_b32_e32 v7, v4, v8, vcc_lo
	v_mov_b32_e32 v8, v3
.LBB0_6:                                ;   in Loop: Header=BB0_2 Depth=1
	s_or_b32 exec_lo, exec_lo, s0
	s_load_dwordx2 s[0:1], s[6:7], 0x0
	v_mul_lo_u32 v4, v8, s18
	v_mul_lo_u32 v12, v7, s19
	v_mad_u64_u32 v[10:11], null, v7, s18, 0
	s_add_u32 s16, s16, 1
	s_addc_u32 s17, s17, 0
	s_add_u32 s6, s6, 8
	s_addc_u32 s7, s7, 0
	;; [unrolled: 2-line block ×3, first 2 shown]
	v_add3_u32 v4, v11, v12, v4
	v_sub_co_u32 v5, vcc_lo, v5, v10
	v_sub_co_ci_u32_e32 v4, vcc_lo, v6, v4, vcc_lo
	s_waitcnt lgkmcnt(0)
	v_mul_lo_u32 v6, s1, v5
	v_mul_lo_u32 v4, s0, v4
	v_mad_u64_u32 v[1:2], null, s0, v5, v[1:2]
	v_cmp_ge_u64_e64 s0, s[16:17], s[10:11]
	s_and_b32 vcc_lo, exec_lo, s0
	v_add3_u32 v2, v6, v2, v4
	s_cbranch_vccnz .LBB0_9
; %bb.7:                                ;   in Loop: Header=BB0_2 Depth=1
	v_mov_b32_e32 v5, v7
	v_mov_b32_e32 v6, v8
	s_branch .LBB0_2
.LBB0_8:
	v_mov_b32_e32 v8, v6
	v_mov_b32_e32 v7, v5
.LBB0_9:
	s_lshl_b64 s[0:1], s[10:11], 3
	v_mul_hi_u32 v3, 0x4bda130, v0
	s_add_u32 s0, s2, s0
	s_addc_u32 s1, s3, s1
	v_and_b32_e32 v6, 3, v9
	s_load_dwordx2 s[0:1], s[0:1], 0x0
	s_load_dwordx2 s[2:3], s[4:5], 0x20
	v_mul_u32_u24_e32 v17, 0x21d, v6
	v_mul_u32_u24_e32 v3, 54, v3
	v_lshlrev_b32_e32 v12, 2, v17
	v_sub_nc_u32_e32 v0, v0, v3
	s_waitcnt lgkmcnt(0)
	v_mul_lo_u32 v4, s0, v8
	v_mul_lo_u32 v5, s1, v7
	v_mad_u64_u32 v[1:2], null, s0, v7, v[1:2]
	v_cmp_gt_u64_e32 vcc_lo, s[2:3], v[7:8]
	v_add3_u32 v2, v5, v2, v4
	v_lshlrev_b64 v[2:3], 2, v[1:2]
	s_and_saveexec_b32 s1, vcc_lo
	s_cbranch_execz .LBB0_13
; %bb.10:
	v_mov_b32_e32 v1, 0
	s_mov_b32 s2, exec_lo
	v_lshlrev_b64 v[5:6], 2, v[0:1]
	v_add_co_u32 v1, s0, s12, v2
	v_add_co_ci_u32_e64 v4, s0, s13, v3, s0
	v_add_co_u32 v5, s0, v1, v5
	v_add_co_ci_u32_e64 v6, s0, v4, v6, s0
	s_clause 0x9
	global_load_dword v7, v[5:6], off
	global_load_dword v8, v[5:6], off offset:216
	global_load_dword v9, v[5:6], off offset:432
	;; [unrolled: 1-line block ×9, first 2 shown]
	v_lshlrev_b32_e32 v5, 2, v0
	v_add3_u32 v5, 0, v12, v5
	v_add_nc_u32_e32 v18, 0x200, v5
	v_add_nc_u32_e32 v19, 0x400, v5
	s_waitcnt vmcnt(8)
	ds_write2_b32 v5, v7, v8 offset1:54
	s_waitcnt vmcnt(6)
	ds_write2_b32 v5, v9, v10 offset0:108 offset1:162
	s_waitcnt vmcnt(4)
	ds_write2_b32 v18, v11, v13 offset0:88 offset1:142
	s_waitcnt vmcnt(2)
	ds_write2_b32 v19, v14, v15 offset0:68 offset1:122
	s_waitcnt vmcnt(0)
	ds_write2_b32 v19, v16, v6 offset0:176 offset1:230
	v_cmpx_eq_u32_e32 53, v0
	s_cbranch_execz .LBB0_12
; %bb.11:
	v_add_co_u32 v0, s0, 0x800, v1
	v_add_co_ci_u32_e64 v1, s0, 0, v4, s0
	global_load_dword v1, v[0:1], off offset:112
	v_mov_b32_e32 v0, 53
	s_waitcnt vmcnt(0)
	ds_write_b32 v5, v1 offset:1948
.LBB0_12:
	s_or_b32 exec_lo, exec_lo, s2
.LBB0_13:
	s_or_b32 exec_lo, exec_lo, s1
	v_lshl_add_u32 v16, v17, 2, 0
	v_lshlrev_b32_e32 v1, 2, v0
	s_waitcnt lgkmcnt(0)
	s_barrier
	buffer_gl0_inv
	s_add_u32 s1, s8, 0x864
	v_add_nc_u32_e32 v13, v16, v1
	v_sub_nc_u32_e32 v6, v16, v1
	s_addc_u32 s2, s9, 0
	s_mov_b32 s3, exec_lo
	ds_read_u16 v1, v13
	ds_read_u16 v4, v6 offset:2160
	s_waitcnt lgkmcnt(0)
	v_add_f16_e32 v8, v4, v1
	v_sub_f16_e32 v7, v1, v4
                                        ; implicit-def: $vgpr4_vgpr5
	v_cmpx_ne_u32_e32 0, v0
	s_xor_b32 s3, exec_lo, s3
	s_cbranch_execz .LBB0_15
; %bb.14:
	v_mov_b32_e32 v1, 0
	v_lshlrev_b64 v[4:5], 2, v[0:1]
	v_add_co_u32 v4, s0, s1, v4
	v_add_co_ci_u32_e64 v5, s0, s2, v5, s0
	global_load_dword v4, v[4:5], off
	ds_read_u16 v5, v6 offset:2162
	ds_read_u16 v9, v13 offset:2
	s_waitcnt lgkmcnt(0)
	v_add_f16_e32 v10, v5, v9
	v_sub_f16_e32 v5, v9, v5
	s_waitcnt vmcnt(0)
	v_lshrrev_b32_e32 v11, 16, v4
	v_fma_f16 v9, v7, v11, v8
	v_fma_f16 v14, v10, v11, v5
	v_fma_f16 v8, -v7, v11, v8
	v_fma_f16 v5, v10, v11, -v5
	v_fma_f16 v9, -v4, v10, v9
	v_fmac_f16_e32 v14, v7, v4
	v_fmac_f16_e32 v8, v4, v10
	;; [unrolled: 1-line block ×3, first 2 shown]
	v_pack_b32_f16 v7, v9, v14
	v_pack_b32_f16 v8, v8, v5
	v_mov_b32_e32 v5, v1
	v_mov_b32_e32 v4, v0
	ds_write_b32 v13, v7
	ds_write_b32 v6, v8 offset:2160
                                        ; implicit-def: $vgpr8
                                        ; implicit-def: $vgpr7
.LBB0_15:
	s_andn2_saveexec_b32 s0, s3
	s_cbranch_execz .LBB0_17
; %bb.16:
	v_pack_b32_f16 v1, v8, v7
	v_mov_b32_e32 v4, 0
	v_mov_b32_e32 v5, 0
	ds_write_b32 v13, v1
	ds_read_b32 v1, v16 offset:1080
	s_waitcnt lgkmcnt(0)
	v_pk_mul_f16 v1, 0xc0004000, v1
	ds_write_b32 v16, v1 offset:1080
.LBB0_17:
	s_or_b32 exec_lo, exec_lo, s0
	v_lshlrev_b64 v[4:5], 2, v[4:5]
	v_add_co_u32 v4, s0, s1, v4
	v_add_co_ci_u32_e64 v5, s0, s2, v5, s0
	v_cmp_gt_u32_e64 s0, 18, v0
	s_clause 0x3
	global_load_dword v1, v[4:5], off offset:216
	global_load_dword v7, v[4:5], off offset:432
	;; [unrolled: 1-line block ×4, first 2 shown]
	ds_read_b32 v5, v13 offset:216
	ds_read_b32 v9, v6 offset:1944
	s_waitcnt lgkmcnt(0)
	v_add_f16_e32 v10, v5, v9
	v_add_f16_sdwa v11, v9, v5 dst_sel:DWORD dst_unused:UNUSED_PAD src0_sel:WORD_1 src1_sel:WORD_1
	v_sub_f16_e32 v14, v5, v9
	v_sub_f16_sdwa v5, v5, v9 dst_sel:DWORD dst_unused:UNUSED_PAD src0_sel:WORD_1 src1_sel:WORD_1
	s_waitcnt vmcnt(3)
	v_lshrrev_b32_e32 v15, 16, v1
	v_fma_f16 v9, v14, v15, v10
	v_fma_f16 v18, v11, v15, v5
	v_fma_f16 v10, -v14, v15, v10
	v_fma_f16 v5, v11, v15, -v5
	v_fma_f16 v9, -v1, v11, v9
	v_fmac_f16_e32 v18, v14, v1
	v_fmac_f16_e32 v10, v1, v11
	;; [unrolled: 1-line block ×3, first 2 shown]
	v_pack_b32_f16 v1, v9, v18
	s_waitcnt vmcnt(2)
	v_lshrrev_b32_e32 v9, 16, v7
	v_pack_b32_f16 v5, v10, v5
	ds_write_b32 v13, v1 offset:216
	ds_write_b32 v6, v5 offset:1944
	ds_read_b32 v1, v13 offset:432
	ds_read_b32 v5, v6 offset:1728
	s_waitcnt lgkmcnt(0)
	v_add_f16_e32 v10, v1, v5
	v_add_f16_sdwa v11, v5, v1 dst_sel:DWORD dst_unused:UNUSED_PAD src0_sel:WORD_1 src1_sel:WORD_1
	v_sub_f16_e32 v14, v1, v5
	v_sub_f16_sdwa v1, v1, v5 dst_sel:DWORD dst_unused:UNUSED_PAD src0_sel:WORD_1 src1_sel:WORD_1
	v_fma_f16 v5, v14, v9, v10
	v_fma_f16 v15, v11, v9, v1
	v_fma_f16 v10, -v14, v9, v10
	v_fma_f16 v1, v11, v9, -v1
	v_fma_f16 v5, -v7, v11, v5
	v_fmac_f16_e32 v15, v14, v7
	v_fmac_f16_e32 v10, v7, v11
	;; [unrolled: 1-line block ×3, first 2 shown]
	s_waitcnt vmcnt(1)
	v_lshrrev_b32_e32 v7, 16, v8
	v_pack_b32_f16 v5, v5, v15
	v_pack_b32_f16 v1, v10, v1
	ds_write_b32 v13, v5 offset:432
	ds_write_b32 v6, v1 offset:1728
	ds_read_b32 v1, v13 offset:648
	ds_read_b32 v5, v6 offset:1512
	s_waitcnt lgkmcnt(0)
	v_add_f16_e32 v9, v1, v5
	v_add_f16_sdwa v10, v5, v1 dst_sel:DWORD dst_unused:UNUSED_PAD src0_sel:WORD_1 src1_sel:WORD_1
	v_sub_f16_e32 v11, v1, v5
	v_sub_f16_sdwa v1, v1, v5 dst_sel:DWORD dst_unused:UNUSED_PAD src0_sel:WORD_1 src1_sel:WORD_1
	v_fma_f16 v5, v11, v7, v9
	v_fma_f16 v14, v10, v7, v1
	v_fma_f16 v9, -v11, v7, v9
	v_fma_f16 v1, v10, v7, -v1
	s_waitcnt vmcnt(0)
	v_lshrrev_b32_e32 v7, 16, v4
	v_fma_f16 v5, -v8, v10, v5
	v_fmac_f16_e32 v14, v11, v8
	v_fmac_f16_e32 v9, v8, v10
	;; [unrolled: 1-line block ×3, first 2 shown]
	v_pack_b32_f16 v5, v5, v14
	v_lshl_add_u32 v14, v0, 2, 0
	v_pack_b32_f16 v1, v9, v1
	ds_write_b32 v13, v5 offset:648
	ds_write_b32 v6, v1 offset:1512
	ds_read_b32 v1, v13 offset:864
	ds_read_b32 v5, v6 offset:1296
	s_waitcnt lgkmcnt(0)
	v_add_f16_e32 v8, v1, v5
	v_add_f16_sdwa v9, v5, v1 dst_sel:DWORD dst_unused:UNUSED_PAD src0_sel:WORD_1 src1_sel:WORD_1
	v_sub_f16_e32 v10, v1, v5
	v_sub_f16_sdwa v1, v1, v5 dst_sel:DWORD dst_unused:UNUSED_PAD src0_sel:WORD_1 src1_sel:WORD_1
	v_fma_f16 v5, v10, v7, v8
	v_fma_f16 v11, v9, v7, v1
	v_fma_f16 v8, -v10, v7, v8
	v_fma_f16 v7, v9, v7, -v1
	v_add_nc_u32_e32 v1, v14, v12
	v_fma_f16 v5, -v4, v9, v5
	v_fmac_f16_e32 v11, v10, v4
	v_fmac_f16_e32 v8, v4, v9
	;; [unrolled: 1-line block ×3, first 2 shown]
	v_add_nc_u32_e32 v9, 0x400, v1
	v_lshlrev_b32_e32 v10, 3, v0
	v_pack_b32_f16 v4, v5, v11
	v_add_nc_u32_e32 v19, 0x200, v1
	v_pack_b32_f16 v5, v8, v7
	ds_write_b32 v13, v4 offset:864
	ds_write_b32 v6, v5 offset:1296
	s_waitcnt lgkmcnt(0)
	s_barrier
	buffer_gl0_inv
	s_barrier
	buffer_gl0_inv
	ds_read2_b32 v[5:6], v9 offset0:86 offset1:104
	ds_read_b32 v18, v1 offset:2088
	ds_read2_b32 v[7:8], v1 offset0:162 offset1:180
	ds_read_b32 v4, v13
	v_add_nc_u32_e32 v11, v14, v10
	ds_read2_b32 v[14:15], v1 offset0:54 offset1:108
	ds_read2_b32 v[20:21], v19 offset0:106 offset1:160
	;; [unrolled: 1-line block ×3, first 2 shown]
	s_waitcnt lgkmcnt(0)
	s_barrier
	buffer_gl0_inv
	v_add_nc_u32_e32 v19, 0x510, v11
	v_add_nc_u32_e32 v24, v11, v12
	;; [unrolled: 1-line block ×3, first 2 shown]
	v_pk_add_f16 v26, v5, v18
	v_pk_add_f16 v29, v8, v6
	;; [unrolled: 1-line block ×3, first 2 shown]
	v_pk_add_f16 v8, v8, v6 neg_lo:[0,1] neg_hi:[0,1]
	v_pk_add_f16 v30, v14, v20
	v_pk_add_f16 v31, v20, v22
	v_pk_add_f16 v20, v20, v22 neg_lo:[0,1] neg_hi:[0,1]
	v_pk_add_f16 v32, v15, v21
	v_pk_add_f16 v33, v21, v23
	v_pk_add_f16 v21, v21, v23 neg_lo:[0,1] neg_hi:[0,1]
	v_pk_add_f16 v27, v5, v18 neg_lo:[0,1] neg_hi:[0,1]
	v_pk_fma_f16 v26, v26, 0.5, v7 op_sel_hi:[1,0,1] neg_lo:[1,0,0] neg_hi:[1,0,0]
	v_pk_fma_f16 v4, v29, 0.5, v4 op_sel_hi:[1,0,1] neg_lo:[1,0,0] neg_hi:[1,0,0]
	v_pk_mul_f16 v8, 0x3aee, v8 op_sel_hi:[0,1]
	v_pk_add_f16 v6, v28, v6
	v_pk_fma_f16 v28, v31, 0.5, v14 op_sel_hi:[1,0,1] neg_lo:[1,0,0] neg_hi:[1,0,0]
	v_pk_mul_f16 v20, 0x3aee, v20 op_sel_hi:[0,1]
	v_pk_fma_f16 v29, v33, 0.5, v15 op_sel_hi:[1,0,1] neg_lo:[1,0,0] neg_hi:[1,0,0]
	v_pk_mul_f16 v21, 0x3aee, v21 op_sel_hi:[0,1]
	v_pk_fma_f16 v14, 0x3aee, v27, v26 op_sel:[0,0,1] op_sel_hi:[0,1,0]
	v_pk_fma_f16 v15, 0x3aee, v27, v26 op_sel:[0,0,1] op_sel_hi:[0,1,0] neg_lo:[0,1,0] neg_hi:[0,1,0]
	v_pk_add_f16 v26, v4, v8 op_sel:[0,1] op_sel_hi:[1,0]
	v_pk_add_f16 v8, v4, v8 op_sel:[0,1] op_sel_hi:[1,0] neg_lo:[0,1] neg_hi:[0,1]
	v_pk_add_f16 v27, v28, v20 op_sel:[0,1] op_sel_hi:[1,0]
	v_pk_add_f16 v20, v28, v20 op_sel:[0,1] op_sel_hi:[1,0] neg_lo:[0,1] neg_hi:[0,1]
	;; [unrolled: 2-line block ×3, first 2 shown]
	v_lshrrev_b32_e32 v4, 16, v14
	v_bfi_b32 v29, 0xffff, v26, v8
	v_pk_add_f16 v22, v30, v22
	v_bfi_b32 v8, 0xffff, v8, v26
	v_bfi_b32 v26, 0xffff, v27, v20
	;; [unrolled: 1-line block ×3, first 2 shown]
	v_pk_add_f16 v23, v32, v23
	v_bfi_b32 v27, 0xffff, v28, v21
	v_bfi_b32 v21, 0xffff, v21, v28
	ds_write2_b32 v24, v6, v29 offset1:1
	ds_write2_b32 v24, v22, v26 offset0:162 offset1:163
	ds_write2_b32 v24, v8, v20 offset0:2 offset1:164
	ds_write2_b32 v25, v23, v27 offset1:1
	ds_write_b32 v25, v21 offset:8
	s_and_saveexec_b32 s1, s0
	s_cbranch_execz .LBB0_19
; %bb.18:
	v_pk_add_f16 v5, v7, v5
	v_lshl_add_u32 v6, v17, 2, v19
	v_pk_add_f16 v5, v5, v18
	ds_write_b16 v6, v4 offset:652
	ds_write_b32 v6, v15 offset:654
	ds_write_b32 v6, v5 offset:648
	ds_write_b16 v6, v14 offset:658
.LBB0_19:
	s_or_b32 exec_lo, exec_lo, s1
	v_and_b32_e32 v5, 0xff, v0
	v_mov_b32_e32 v6, 9
	s_waitcnt lgkmcnt(0)
	s_barrier
	buffer_gl0_inv
	v_mul_lo_u16 v5, 0xab, v5
	v_sub_nc_u32_e32 v19, v11, v10
	v_mov_b32_e32 v35, 2
	v_cmp_gt_u32_e64 s1, 36, v0
	v_lshrrev_b16 v30, 9, v5
	v_mul_lo_u16 v5, v30, 3
	v_and_b32_e32 v30, 0xffff, v30
	v_sub_nc_u16 v31, v0, v5
	v_mad_u32_u24 v30, 0x78, v30, 0
	v_mul_u32_u24_sdwa v5, v31, v6 dst_sel:DWORD dst_unused:UNUSED_PAD src0_sel:BYTE_0 src1_sel:DWORD
	v_lshlrev_b32_sdwa v31, v35, v31 dst_sel:DWORD dst_unused:UNUSED_PAD src0_sel:DWORD src1_sel:BYTE_0
	v_lshlrev_b32_e32 v18, 2, v5
	v_add3_u32 v30, v30, v31, v12
	s_clause 0x2
	global_load_dwordx4 v[5:8], v18, s[8:9]
	global_load_dwordx4 v[20:23], v18, s[8:9] offset:16
	global_load_dword v32, v18, s[8:9] offset:32
	v_add_nc_u32_e32 v18, v19, v12
	ds_read_b32 v33, v13
	ds_read2_b32 v[10:11], v18 offset0:54 offset1:108
	ds_read_b32 v34, v18 offset:1944
	v_add_nc_u32_e32 v28, 0x400, v18
	ds_read2_b32 v[24:25], v18 offset0:162 offset1:216
	ds_read2_b32 v[26:27], v28 offset0:14 offset1:68
	;; [unrolled: 1-line block ×3, first 2 shown]
	s_waitcnt vmcnt(0) lgkmcnt(0)
	s_barrier
	buffer_gl0_inv
	v_lshrrev_b32_e32 v36, 16, v33
	v_lshrrev_b32_e32 v38, 16, v11
	;; [unrolled: 1-line block ×10, first 2 shown]
	v_mul_f16_sdwa v46, v6, v38 dst_sel:DWORD dst_unused:UNUSED_PAD src0_sel:WORD_1 src1_sel:DWORD
	v_mul_f16_sdwa v44, v5, v37 dst_sel:DWORD dst_unused:UNUSED_PAD src0_sel:WORD_1 src1_sel:DWORD
	;; [unrolled: 1-line block ×10, first 2 shown]
	v_mul_f16_sdwa v54, v31, v21 dst_sel:DWORD dst_unused:UNUSED_PAD src0_sel:DWORD src1_sel:WORD_1
	v_mul_f16_sdwa v55, v27, v21 dst_sel:DWORD dst_unused:UNUSED_PAD src0_sel:DWORD src1_sel:WORD_1
	v_mul_f16_sdwa v56, v41, v22 dst_sel:DWORD dst_unused:UNUSED_PAD src0_sel:DWORD src1_sel:WORD_1
	v_mul_f16_sdwa v57, v28, v22 dst_sel:DWORD dst_unused:UNUSED_PAD src0_sel:DWORD src1_sel:WORD_1
	v_mul_f16_sdwa v58, v42, v23 dst_sel:DWORD dst_unused:UNUSED_PAD src0_sel:DWORD src1_sel:WORD_1
	v_mul_f16_sdwa v59, v29, v23 dst_sel:DWORD dst_unused:UNUSED_PAD src0_sel:DWORD src1_sel:WORD_1
	v_mul_f16_sdwa v60, v35, v32 dst_sel:DWORD dst_unused:UNUSED_PAD src0_sel:DWORD src1_sel:WORD_1
	v_mul_f16_sdwa v61, v34, v32 dst_sel:DWORD dst_unused:UNUSED_PAD src0_sel:DWORD src1_sel:WORD_1
	v_fma_f16 v11, v6, v11, -v46
	v_fma_f16 v10, v5, v10, -v44
	v_fmac_f16_e32 v45, v5, v37
	v_fmac_f16_e32 v47, v6, v38
	v_fma_f16 v5, v7, v24, -v48
	v_fmac_f16_e32 v49, v7, v39
	v_fma_f16 v6, v8, v25, -v50
	;; [unrolled: 2-line block ×7, first 2 shown]
	v_fmac_f16_e32 v61, v35, v32
	v_add_f16_e32 v23, v33, v11
	v_add_f16_e32 v24, v6, v8
	;; [unrolled: 1-line block ×3, first 2 shown]
	v_sub_f16_e32 v31, v6, v11
	v_sub_f16_e32 v32, v8, v21
	v_add_f16_e32 v34, v36, v47
	v_add_f16_e32 v35, v51, v55
	v_sub_f16_e32 v38, v47, v51
	v_sub_f16_e32 v39, v59, v55
	v_sub_f16_e32 v41, v51, v47
	v_sub_f16_e32 v42, v55, v59
	v_add_f16_e32 v43, v10, v5
	v_add_f16_e32 v44, v7, v20
	;; [unrolled: 1-line block ×3, first 2 shown]
	v_sub_f16_e32 v27, v11, v6
	v_sub_f16_e32 v28, v21, v8
	;; [unrolled: 1-line block ×3, first 2 shown]
	v_add_f16_e32 v52, v5, v22
	v_add_f16_e32 v6, v23, v6
	v_add_f16_e32 v23, v49, v61
	v_add_f16_e32 v40, v47, v59
	v_sub_f16_e32 v46, v49, v61
	v_sub_f16_e32 v48, v5, v7
	;; [unrolled: 1-line block ×4, first 2 shown]
	v_add_f16_e32 v58, v45, v49
	v_sub_f16_e32 v5, v5, v22
	v_sub_f16_e32 v62, v7, v20
	v_fma_f16 v24, -0.5, v24, v33
	v_fmac_f16_e32 v33, -0.5, v29
	v_add_f16_e32 v29, v31, v32
	v_add_f16_e32 v31, v34, v51
	;; [unrolled: 1-line block ×3, first 2 shown]
	v_fma_f16 v34, -0.5, v35, v36
	v_add_f16_e32 v35, v41, v42
	v_add_f16_e32 v7, v43, v7
	v_fma_f16 v38, -0.5, v44, v10
	v_fma_f16 v42, -0.5, v60, v45
	v_sub_f16_e32 v25, v47, v59
	v_sub_f16_e32 v47, v53, v57
	;; [unrolled: 1-line block ×4, first 2 shown]
	v_add_f16_e32 v27, v27, v28
	v_sub_f16_e32 v28, v57, v61
	v_fmac_f16_e32 v10, -0.5, v52
	v_fmac_f16_e32 v45, -0.5, v23
	v_sub_f16_e32 v56, v20, v22
	v_sub_f16_e32 v64, v61, v57
	v_fmac_f16_e32 v36, -0.5, v40
	v_add_f16_e32 v39, v48, v50
	v_add_f16_e32 v41, v58, v53
	;; [unrolled: 1-line block ×3, first 2 shown]
	v_fmamk_f16 v20, v46, 0x3b9c, v38
	v_fmamk_f16 v50, v5, 0xbb9c, v42
	v_sub_f16_e32 v26, v51, v55
	v_add_f16_e32 v23, v49, v28
	v_fmamk_f16 v49, v47, 0xbb9c, v10
	v_fmac_f16_e32 v10, 0x3b9c, v47
	v_fmamk_f16 v51, v62, 0x3b9c, v45
	v_fmac_f16_e32 v45, 0xbb9c, v62
	v_fmac_f16_e32 v38, 0xbb9c, v46
	;; [unrolled: 1-line block ×3, first 2 shown]
	v_sub_f16_e32 v11, v11, v21
	v_add_f16_e32 v43, v63, v64
	v_add_f16_e32 v6, v6, v8
	;; [unrolled: 1-line block ×3, first 2 shown]
	v_fmamk_f16 v48, v37, 0x3b9c, v36
	v_fmac_f16_e32 v36, 0xbb9c, v37
	v_add_f16_e32 v41, v41, v57
	v_fmac_f16_e32 v20, 0x38b4, v47
	v_fmac_f16_e32 v50, 0xb8b4, v62
	v_add_f16_e32 v40, v54, v56
	v_fmamk_f16 v8, v25, 0x3b9c, v24
	v_fmac_f16_e32 v24, 0xbb9c, v25
	v_fmamk_f16 v28, v26, 0xbb9c, v33
	v_fmac_f16_e32 v33, 0x3b9c, v26
	v_fmac_f16_e32 v49, 0x38b4, v46
	;; [unrolled: 1-line block ×7, first 2 shown]
	v_fmamk_f16 v44, v11, 0xbb9c, v34
	v_fmac_f16_e32 v34, 0x3b9c, v11
	v_add_f16_e32 v6, v6, v21
	v_add_f16_e32 v21, v31, v59
	v_fmac_f16_e32 v48, 0xb8b4, v11
	v_fmac_f16_e32 v36, 0x38b4, v11
	v_add_f16_e32 v7, v7, v22
	v_add_f16_e32 v11, v41, v61
	v_fmac_f16_e32 v20, 0x34f2, v39
	v_fmac_f16_e32 v50, 0x34f2, v43
	;; [unrolled: 1-line block ×13, first 2 shown]
	v_add_f16_e32 v5, v6, v7
	v_add_f16_e32 v22, v21, v11
	v_sub_f16_e32 v6, v6, v7
	v_sub_f16_e32 v7, v21, v11
	v_mul_f16_e32 v11, 0x38b4, v50
	v_mul_f16_e32 v26, 0xb8b4, v20
	v_fmac_f16_e32 v34, 0x38b4, v37
	v_fmac_f16_e32 v8, 0x34f2, v27
	;; [unrolled: 1-line block ×5, first 2 shown]
	v_mul_f16_e32 v21, 0x3b9c, v51
	v_mul_f16_e32 v23, 0x34f2, v10
	;; [unrolled: 1-line block ×6, first 2 shown]
	v_fmac_f16_e32 v44, 0x34f2, v32
	v_fmac_f16_e32 v11, 0x3a79, v20
	;; [unrolled: 1-line block ×6, first 2 shown]
	v_pack_b32_f16 v32, v6, v7
	v_fmac_f16_e32 v21, 0x34f2, v49
	v_fma_f16 v7, v45, 0x3b9c, -v23
	v_fmac_f16_e32 v27, 0x34f2, v51
	v_fma_f16 v10, v10, 0xbb9c, -v29
	v_pack_b32_f16 v5, v5, v22
	v_fma_f16 v22, v42, 0x38b4, -v25
	v_fma_f16 v23, v38, 0xb8b4, -v31
	v_add_f16_e32 v29, v8, v11
	v_add_f16_e32 v38, v44, v26
	;; [unrolled: 1-line block ×8, first 2 shown]
	v_sub_f16_e32 v20, v8, v11
	v_sub_f16_e32 v6, v28, v21
	;; [unrolled: 1-line block ×8, first 2 shown]
	v_pack_b32_f16 v8, v29, v38
	v_pack_b32_f16 v10, v31, v39
	;; [unrolled: 1-line block ×8, first 2 shown]
	ds_write2_b32 v30, v5, v8 offset1:3
	ds_write2_b32 v30, v10, v11 offset0:6 offset1:9
	ds_write2_b32 v30, v21, v32 offset0:12 offset1:15
	;; [unrolled: 1-line block ×4, first 2 shown]
	s_waitcnt lgkmcnt(0)
	s_barrier
	buffer_gl0_inv
	ds_read2_b32 v[10:11], v1 offset0:90 offset1:180
	ds_read_b32 v23, v13
	ds_read_b32 v30, v18 offset:1080
	ds_read2_b32 v[8:9], v9 offset0:104 offset1:194
	v_lshrrev_b32_e32 v5, 16, v15
	s_and_saveexec_b32 s2, s1
	s_cbranch_execz .LBB0_21
; %bb.20:
	v_add_nc_u32_e32 v4, 0x400, v1
	ds_read_b32 v20, v18 offset:216
	ds_read_b32 v24, v18 offset:1296
	ds_read2_b32 v[6:7], v1 offset0:144 offset1:234
	ds_read2_b32 v[4:5], v4 offset0:158 offset1:248
	s_waitcnt lgkmcnt(3)
	v_lshrrev_b32_e32 v22, 16, v20
	s_waitcnt lgkmcnt(2)
	v_lshrrev_b32_e32 v25, 16, v24
	;; [unrolled: 2-line block ×4, first 2 shown]
	v_lshrrev_b32_e32 v14, 16, v5
	v_lshrrev_b32_e32 v27, 16, v7
.LBB0_21:
	s_or_b32 exec_lo, exec_lo, s2
	v_subrev_nc_u32_e32 v21, 30, v0
	v_cmp_gt_u32_e64 s2, 30, v0
	v_mov_b32_e32 v29, 0
	s_waitcnt lgkmcnt(3)
	v_lshrrev_b32_e32 v45, 16, v11
	s_waitcnt lgkmcnt(1)
	v_lshrrev_b32_e32 v46, 16, v30
	;; [unrolled: 2-line block ×3, first 2 shown]
	v_cndmask_b32_e64 v39, v21, v0, s2
	v_add_nc_u32_e32 v21, 54, v0
	v_lshrrev_b32_e32 v44, 16, v10
	v_lshrrev_b32_e32 v47, 16, v8
	v_lshrrev_b32_e32 v43, 16, v23
	v_mul_i32_i24_e32 v28, 5, v39
	v_lshlrev_b32_e32 v39, 2, v39
	v_lshlrev_b64 v[28:29], 2, v[28:29]
	v_add_co_u32 v35, s2, s8, v28
	v_and_b32_e32 v28, 0xff, v21
	v_add_co_ci_u32_e64 v36, s2, s9, v29, s2
	v_cmp_lt_u32_e64 s2, 29, v0
	v_mul_lo_u16 v28, 0x89, v28
	s_clause 0x1
	global_load_dwordx4 v[31:34], v[35:36], off offset:108
	global_load_dword v40, v[35:36], off offset:124
	v_mov_b32_e32 v35, 5
	v_cndmask_b32_e64 v42, 0, 0x2d0, s2
	v_lshrrev_b16 v29, 12, v28
	v_add_nc_u32_e32 v42, 0, v42
	v_mul_lo_u16 v28, v29, 30
	v_add3_u32 v39, v42, v39, v12
	v_sub_nc_u16 v28, v21, v28
	v_mul_u32_u24_sdwa v35, v28, v35 dst_sel:DWORD dst_unused:UNUSED_PAD src0_sel:BYTE_0 src1_sel:DWORD
	v_lshlrev_b32_e32 v41, 2, v35
	s_clause 0x1
	global_load_dwordx4 v[35:38], v41, s[8:9] offset:108
	global_load_dword v41, v41, s[8:9] offset:124
	s_waitcnt vmcnt(0)
	s_barrier
	buffer_gl0_inv
	v_mul_f16_sdwa v49, v31, v10 dst_sel:DWORD dst_unused:UNUSED_PAD src0_sel:WORD_1 src1_sel:DWORD
	v_mul_f16_sdwa v50, v32, v45 dst_sel:DWORD dst_unused:UNUSED_PAD src0_sel:WORD_1 src1_sel:DWORD
	v_mul_f16_sdwa v51, v32, v11 dst_sel:DWORD dst_unused:UNUSED_PAD src0_sel:WORD_1 src1_sel:DWORD
	v_mul_f16_sdwa v52, v33, v46 dst_sel:DWORD dst_unused:UNUSED_PAD src0_sel:WORD_1 src1_sel:DWORD
	v_mul_f16_sdwa v53, v33, v30 dst_sel:DWORD dst_unused:UNUSED_PAD src0_sel:WORD_1 src1_sel:DWORD
	v_mul_f16_sdwa v55, v34, v8 dst_sel:DWORD dst_unused:UNUSED_PAD src0_sel:WORD_1 src1_sel:DWORD
	v_mul_f16_sdwa v56, v40, v48 dst_sel:DWORD dst_unused:UNUSED_PAD src0_sel:WORD_1 src1_sel:DWORD
	v_mul_f16_sdwa v57, v40, v9 dst_sel:DWORD dst_unused:UNUSED_PAD src0_sel:WORD_1 src1_sel:DWORD
	v_mul_f16_sdwa v42, v31, v44 dst_sel:DWORD dst_unused:UNUSED_PAD src0_sel:WORD_1 src1_sel:DWORD
	v_mul_f16_sdwa v54, v34, v47 dst_sel:DWORD dst_unused:UNUSED_PAD src0_sel:WORD_1 src1_sel:DWORD
	v_fmac_f16_e32 v49, v31, v44
	v_fma_f16 v11, v32, v11, -v50
	v_fmac_f16_e32 v51, v32, v45
	v_fma_f16 v30, v33, v30, -v52
	v_fmac_f16_e32 v53, v33, v46
	v_fmac_f16_e32 v55, v34, v47
	v_fma_f16 v9, v40, v9, -v56
	v_fmac_f16_e32 v57, v40, v48
	v_fma_f16 v10, v31, v10, -v42
	v_fma_f16 v8, v34, v8, -v54
	v_add_f16_e32 v31, v23, v11
	v_sub_f16_e32 v33, v51, v55
	v_add_f16_e32 v34, v43, v51
	v_add_f16_e32 v40, v51, v55
	;; [unrolled: 1-line block ×3, first 2 shown]
	v_sub_f16_e32 v45, v53, v57
	v_add_f16_e32 v46, v49, v53
	v_add_f16_e32 v47, v53, v57
	v_mul_f16_sdwa v48, v26, v35 dst_sel:DWORD dst_unused:UNUSED_PAD src0_sel:DWORD src1_sel:WORD_1
	v_mul_f16_sdwa v51, v27, v36 dst_sel:DWORD dst_unused:UNUSED_PAD src0_sel:DWORD src1_sel:WORD_1
	;; [unrolled: 1-line block ×6, first 2 shown]
	v_add_f16_e32 v32, v11, v8
	v_sub_f16_e32 v11, v11, v8
	v_add_f16_e32 v42, v10, v30
	v_sub_f16_e32 v30, v30, v9
	v_mul_f16_sdwa v50, v6, v35 dst_sel:DWORD dst_unused:UNUSED_PAD src0_sel:DWORD src1_sel:WORD_1
	v_mul_f16_sdwa v52, v7, v36 dst_sel:DWORD dst_unused:UNUSED_PAD src0_sel:DWORD src1_sel:WORD_1
	;; [unrolled: 1-line block ×3, first 2 shown]
	v_add_f16_e32 v8, v31, v8
	v_add_f16_e32 v31, v34, v55
	v_fmac_f16_e32 v43, -0.5, v40
	v_fmac_f16_e32 v10, -0.5, v44
	;; [unrolled: 1-line block ×3, first 2 shown]
	v_fma_f16 v34, v6, v35, -v48
	v_fma_f16 v6, v7, v36, -v51
	;; [unrolled: 1-line block ×3, first 2 shown]
	v_fmac_f16_e32 v54, v25, v37
	v_fma_f16 v5, v5, v41, -v59
	v_fmac_f16_e32 v60, v14, v41
	v_mul_f16_sdwa v56, v15, v38 dst_sel:DWORD dst_unused:UNUSED_PAD src0_sel:DWORD src1_sel:WORD_1
	v_fmac_f16_e32 v23, -0.5, v32
	v_fmac_f16_e32 v50, v26, v35
	v_fmac_f16_e32 v52, v27, v36
	;; [unrolled: 1-line block ×3, first 2 shown]
	v_fmamk_f16 v15, v11, 0xbaee, v43
	v_fmac_f16_e32 v43, 0x3aee, v11
	v_fmamk_f16 v11, v45, 0x3aee, v10
	v_fmamk_f16 v24, v30, 0xbaee, v49
	v_add_f16_e32 v37, v7, v5
	v_add_f16_e32 v41, v54, v60
	;; [unrolled: 1-line block ×4, first 2 shown]
	v_fma_f16 v4, v4, v38, -v56
	v_fmamk_f16 v14, v33, 0x3aee, v23
	v_fmac_f16_e32 v23, 0xbaee, v33
	v_fmac_f16_e32 v10, 0xbaee, v45
	;; [unrolled: 1-line block ×3, first 2 shown]
	v_add_f16_e32 v27, v20, v6
	v_add_f16_e32 v33, v52, v58
	;; [unrolled: 1-line block ×3, first 2 shown]
	v_sub_f16_e32 v38, v54, v60
	v_add_f16_e32 v40, v50, v54
	v_sub_f16_e32 v42, v7, v5
	v_mul_f16_e32 v44, 0x3aee, v24
	v_mul_f16_e32 v46, 0xbaee, v11
	v_fmac_f16_e32 v34, -0.5, v37
	v_fmac_f16_e32 v50, -0.5, v41
	v_add_f16_e32 v25, v8, v9
	v_add_f16_e32 v26, v31, v32
	v_sub_f16_e32 v8, v8, v9
	v_sub_f16_e32 v9, v31, v32
	v_add_f16_e32 v30, v6, v4
	v_add_f16_e32 v32, v22, v52
	v_sub_f16_e32 v35, v6, v4
	v_mul_f16_e32 v45, -0.5, v10
	v_mul_f16_e32 v47, -0.5, v49
	v_add_f16_e32 v6, v27, v4
	v_fmac_f16_e32 v22, -0.5, v33
	v_add_f16_e32 v7, v36, v5
	v_fmac_f16_e32 v44, 0.5, v11
	v_fmac_f16_e32 v46, 0.5, v24
	v_fmamk_f16 v4, v38, 0x3aee, v34
	v_fmac_f16_e32 v34, 0xbaee, v38
	v_fmamk_f16 v5, v42, 0xbaee, v50
	v_fmac_f16_e32 v50, 0x3aee, v42
	v_sub_f16_e32 v31, v52, v58
	v_pack_b32_f16 v48, v25, v26
	v_pack_b32_f16 v51, v8, v9
	v_fmac_f16_e32 v20, -0.5, v30
	v_add_f16_e32 v8, v32, v58
	v_fmac_f16_e32 v45, 0x3aee, v49
	v_fmac_f16_e32 v47, 0xbaee, v10
	v_fmamk_f16 v11, v35, 0xbaee, v22
	v_fmac_f16_e32 v22, 0x3aee, v35
	v_add_f16_e32 v26, v14, v44
	v_add_f16_e32 v32, v15, v46
	v_sub_f16_e32 v35, v14, v44
	v_sub_f16_e32 v36, v15, v46
	v_mul_f16_e32 v14, 0x3aee, v5
	v_mul_f16_e32 v15, -0.5, v34
	v_mul_f16_e32 v27, 0xbaee, v4
	v_mul_f16_e32 v30, -0.5, v50
	v_add_f16_e32 v9, v40, v60
	v_fmamk_f16 v10, v31, 0x3aee, v20
	v_fmac_f16_e32 v20, 0xbaee, v31
	v_add_f16_e32 v31, v23, v45
	v_sub_f16_e32 v23, v23, v45
	v_sub_f16_e32 v37, v43, v47
	v_fmac_f16_e32 v14, 0.5, v4
	v_fmac_f16_e32 v15, 0x3aee, v50
	v_fmac_f16_e32 v27, 0.5, v5
	v_fmac_f16_e32 v30, 0xbaee, v34
	v_add_f16_e32 v33, v43, v47
	v_sub_f16_e32 v24, v6, v7
	v_sub_f16_e32 v25, v8, v9
	v_pack_b32_f16 v32, v26, v32
	v_pack_b32_f16 v34, v23, v37
	v_sub_f16_e32 v4, v10, v14
	v_sub_f16_e32 v5, v20, v15
	;; [unrolled: 1-line block ×4, first 2 shown]
	v_pack_b32_f16 v31, v31, v33
	v_pack_b32_f16 v33, v35, v36
	ds_write2_b32 v39, v48, v32 offset1:30
	ds_write2_b32 v39, v31, v51 offset0:60 offset1:90
	ds_write2_b32 v39, v33, v34 offset0:120 offset1:150
	s_and_saveexec_b32 s2, s1
	s_cbranch_execz .LBB0_23
; %bb.22:
	v_and_b32_e32 v29, 0xffff, v29
	v_mov_b32_e32 v31, 2
	v_add_f16_e32 v11, v11, v27
	v_add_f16_e32 v8, v8, v9
	;; [unrolled: 1-line block ×3, first 2 shown]
	v_mad_u32_u24 v9, 0x2d0, v29, 0
	v_lshlrev_b32_sdwa v27, v31, v28 dst_sel:DWORD dst_unused:UNUSED_PAD src0_sel:DWORD src1_sel:BYTE_0
	v_add_f16_e32 v7, v10, v14
	v_add_f16_e32 v22, v22, v30
	;; [unrolled: 1-line block ×3, first 2 shown]
	v_pack_b32_f16 v6, v6, v8
	v_add3_u32 v9, v9, v27, v12
	v_pack_b32_f16 v7, v7, v11
	v_perm_b32 v11, v26, v4, 0x5040100
	v_pack_b32_f16 v8, v10, v22
	v_perm_b32 v10, v25, v24, 0x5040100
	v_perm_b32 v12, v23, v5, 0x5040100
	ds_write2_b32 v9, v6, v7 offset1:30
	ds_write2_b32 v9, v8, v10 offset0:60 offset1:90
	ds_write2_b32 v9, v11, v12 offset0:120 offset1:150
.LBB0_23:
	s_or_b32 exec_lo, exec_lo, s2
	v_add_nc_u32_e32 v8, 0x400, v1
	s_waitcnt lgkmcnt(0)
	s_barrier
	buffer_gl0_inv
	ds_read_b32 v20, v13
	ds_read2_b32 v[14:15], v1 offset0:180 offset1:234
	ds_read2_b32 v[10:11], v8 offset0:32 offset1:104
	;; [unrolled: 1-line block ×4, first 2 shown]
	s_and_saveexec_b32 s1, s0
	s_cbranch_execz .LBB0_25
; %bb.24:
	v_add_nc_u32_e32 v4, 0x500, v1
	ds_read_b32 v24, v18 offset:648
	ds_read2_b32 v[4:5], v4 offset0:22 offset1:202
	s_waitcnt lgkmcnt(1)
	v_lshrrev_b32_e32 v25, 16, v24
	s_waitcnt lgkmcnt(0)
	v_lshrrev_b32_e32 v23, 16, v5
	v_lshrrev_b32_e32 v26, 16, v4
.LBB0_25:
	s_or_b32 exec_lo, exec_lo, s1
	v_mov_b32_e32 v9, 0
	v_lshlrev_b32_e32 v8, 1, v0
	v_lshlrev_b32_e32 v21, 1, v21
	s_waitcnt lgkmcnt(3)
	v_lshrrev_b32_e32 v35, 16, v14
	s_waitcnt lgkmcnt(2)
	v_lshrrev_b32_e32 v37, 16, v11
	v_mov_b32_e32 v22, v9
	v_lshlrev_b64 v[27:28], 2, v[8:9]
	v_add_nc_u32_e32 v8, 0xd8, v8
	v_lshrrev_b32_e32 v33, 16, v10
	v_lshrrev_b32_e32 v36, 16, v15
	v_lshlrev_b64 v[21:22], 2, v[21:22]
	s_waitcnt lgkmcnt(0)
	v_lshrrev_b32_e32 v34, 16, v12
	v_add_co_u32 v27, s1, s8, v27
	v_lshlrev_b64 v[29:30], 2, v[8:9]
	v_add_co_ci_u32_e64 v28, s1, s9, v28, s1
	v_add_co_u32 v21, s1, s8, v21
	v_add_co_ci_u32_e64 v22, s1, s9, v22, s1
	v_add_co_u32 v29, s1, s8, v29
	global_load_dwordx2 v[27:28], v[27:28], off offset:708
	v_add_co_ci_u32_e64 v30, s1, s9, v30, s1
	s_clause 0x1
	global_load_dwordx2 v[21:22], v[21:22], off offset:708
	global_load_dwordx2 v[29:30], v[29:30], off offset:708
	v_lshl_add_u32 v17, v17, 2, v19
	v_lshrrev_b32_e32 v19, 16, v13
	v_lshrrev_b32_e32 v8, 16, v20
	;; [unrolled: 1-line block ×4, first 2 shown]
	s_waitcnt vmcnt(0)
	s_barrier
	buffer_gl0_inv
	v_mul_f16_sdwa v38, v27, v35 dst_sel:DWORD dst_unused:UNUSED_PAD src0_sel:WORD_1 src1_sel:DWORD
	v_mul_f16_sdwa v39, v27, v14 dst_sel:DWORD dst_unused:UNUSED_PAD src0_sel:WORD_1 src1_sel:DWORD
	;; [unrolled: 1-line block ×4, first 2 shown]
	v_fma_f16 v14, v27, v14, -v38
	v_fmac_f16_e32 v39, v27, v35
	v_fma_f16 v11, v28, v11, -v40
	v_fmac_f16_e32 v41, v28, v37
	v_mul_f16_sdwa v27, v21, v36 dst_sel:DWORD dst_unused:UNUSED_PAD src0_sel:WORD_1 src1_sel:DWORD
	v_mul_f16_sdwa v28, v21, v15 dst_sel:DWORD dst_unused:UNUSED_PAD src0_sel:WORD_1 src1_sel:DWORD
	;; [unrolled: 1-line block ×8, first 2 shown]
	v_fma_f16 v15, v21, v15, -v27
	v_fmac_f16_e32 v28, v21, v36
	v_fma_f16 v10, v29, v10, -v38
	v_fmac_f16_e32 v40, v29, v33
	v_add_f16_e32 v21, v14, v11
	v_add_f16_e32 v29, v39, v41
	v_fma_f16 v12, v22, v12, -v35
	v_fmac_f16_e32 v43, v30, v19
	v_add_f16_e32 v19, v20, v14
	v_add_f16_e32 v27, v8, v39
	v_fmac_f16_e32 v37, v22, v34
	v_fma_f16 v13, v30, v13, -v42
	v_sub_f16_e32 v22, v39, v41
	v_sub_f16_e32 v14, v14, v11
	v_fmac_f16_e32 v20, -0.5, v21
	v_fmac_f16_e32 v8, -0.5, v29
	v_add_f16_e32 v21, v6, v15
	v_add_f16_e32 v30, v31, v28
	;; [unrolled: 1-line block ×5, first 2 shown]
	v_sub_f16_e32 v29, v28, v37
	v_add_f16_e32 v28, v28, v37
	v_add_f16_e32 v33, v7, v10
	;; [unrolled: 1-line block ×5, first 2 shown]
	v_fmamk_f16 v39, v22, 0x3aee, v20
	v_fmac_f16_e32 v20, 0xbaee, v22
	v_fmamk_f16 v22, v14, 0xbaee, v8
	v_fmac_f16_e32 v8, 0x3aee, v14
	v_sub_f16_e32 v15, v15, v12
	v_add_f16_e32 v12, v21, v12
	v_add_f16_e32 v14, v30, v37
	v_fma_f16 v6, -0.5, v27, v6
	v_fmac_f16_e32 v31, -0.5, v28
	v_sub_f16_e32 v35, v40, v43
	v_sub_f16_e32 v10, v10, v13
	v_add_f16_e32 v13, v33, v13
	v_fmac_f16_e32 v7, -0.5, v34
	v_add_f16_e32 v21, v36, v43
	v_fmac_f16_e32 v32, -0.5, v38
	v_pack_b32_f16 v11, v11, v19
	v_pack_b32_f16 v22, v39, v22
	v_pack_b32_f16 v8, v20, v8
	v_pack_b32_f16 v12, v12, v14
	v_fmamk_f16 v19, v29, 0x3aee, v6
	v_fmamk_f16 v27, v15, 0xbaee, v31
	v_fmac_f16_e32 v6, 0xbaee, v29
	v_fmac_f16_e32 v31, 0x3aee, v15
	v_fmamk_f16 v15, v35, 0x3aee, v7
	v_fmac_f16_e32 v7, 0xbaee, v35
	v_fmamk_f16 v28, v10, 0xbaee, v32
	v_fmac_f16_e32 v32, 0x3aee, v10
	v_pack_b32_f16 v10, v13, v21
	ds_write2_b32 v1, v11, v22 offset1:180
	ds_write_b32 v1, v8 offset:1440
	ds_write_b32 v18, v12 offset:216
	ds_write_b16 v17, v19 offset:936
	ds_write_b16 v17, v27 offset:938
	;; [unrolled: 1-line block ×4, first 2 shown]
	ds_write_b32 v18, v10 offset:432
	ds_write_b16 v17, v15 offset:1152
	ds_write_b16 v17, v28 offset:1154
	ds_write_b16 v17, v7 offset:1872
	ds_write_b16 v17, v32 offset:1874
	s_and_saveexec_b32 s1, s0
	s_cbranch_execz .LBB0_27
; %bb.26:
	v_mov_b32_e32 v6, 0xa2
	v_cndmask_b32_e64 v6, 0xffffffee, v6, s0
	v_add_lshl_u32 v8, v0, v6, 1
	v_lshlrev_b64 v[6:7], 2, v[8:9]
	v_add_co_u32 v6, s0, s8, v6
	v_add_co_ci_u32_e64 v7, s0, s9, v7, s0
	global_load_dwordx2 v[6:7], v[6:7], off offset:708
	s_waitcnt vmcnt(0)
	v_mul_f16_sdwa v8, v26, v6 dst_sel:DWORD dst_unused:UNUSED_PAD src0_sel:DWORD src1_sel:WORD_1
	v_mul_f16_sdwa v9, v4, v6 dst_sel:DWORD dst_unused:UNUSED_PAD src0_sel:DWORD src1_sel:WORD_1
	;; [unrolled: 1-line block ×4, first 2 shown]
	v_fma_f16 v4, v4, v6, -v8
	v_fmac_f16_e32 v9, v26, v6
	v_fmac_f16_e32 v10, v23, v7
	v_fma_f16 v5, v5, v7, -v11
	v_add_f16_e32 v11, v25, v9
	v_add_f16_e32 v6, v9, v10
	;; [unrolled: 1-line block ×3, first 2 shown]
	v_sub_f16_e32 v7, v4, v5
	v_add_f16_e32 v4, v24, v4
	v_sub_f16_e32 v9, v9, v10
	v_fma_f16 v6, -0.5, v6, v25
	v_fma_f16 v8, -0.5, v8, v24
	v_add_f16_e32 v10, v11, v10
	v_add_f16_e32 v4, v4, v5
	v_fmamk_f16 v5, v7, 0x3aee, v6
	v_fmac_f16_e32 v6, 0xbaee, v7
	v_fmamk_f16 v7, v9, 0xbaee, v8
	v_fmac_f16_e32 v8, 0x3aee, v9
	v_add_nc_u32_e32 v9, 0x200, v1
	v_pack_b32_f16 v4, v4, v10
	v_pack_b32_f16 v5, v7, v5
	;; [unrolled: 1-line block ×3, first 2 shown]
	ds_write2_b32 v9, v4, v6 offset0:34 offset1:214
	ds_write_b32 v1, v5 offset:2088
.LBB0_27:
	s_or_b32 exec_lo, exec_lo, s1
	s_waitcnt lgkmcnt(0)
	s_barrier
	buffer_gl0_inv
	s_and_saveexec_b32 s0, vcc_lo
	s_cbranch_execz .LBB0_29
; %bb.28:
	v_lshl_add_u32 v18, v0, 2, v16
	v_mov_b32_e32 v1, 0
	v_add_co_u32 v19, vcc_lo, s12, v2
	v_add_co_ci_u32_e32 v20, vcc_lo, s13, v3, vcc_lo
	ds_read2_b32 v[4:5], v18 offset1:54
	v_lshlrev_b64 v[10:11], 2, v[0:1]
	v_add_nc_u32_e32 v2, 54, v0
	v_mov_b32_e32 v3, v1
	v_add_nc_u32_e32 v14, 0x200, v18
	v_add_nc_u32_e32 v6, 0x6c, v0
	v_mov_b32_e32 v7, v1
	v_add_co_u32 v10, vcc_lo, v19, v10
	v_add_co_ci_u32_e32 v11, vcc_lo, v20, v11, vcc_lo
	ds_read2_b32 v[12:13], v18 offset0:108 offset1:162
	v_lshlrev_b64 v[2:3], 2, v[2:3]
	v_add_nc_u32_e32 v8, 0xa2, v0
	v_mov_b32_e32 v9, v1
	ds_read2_b32 v[14:15], v14 offset0:88 offset1:142
	v_lshlrev_b64 v[6:7], 2, v[6:7]
	v_add_nc_u32_e32 v16, 0x10e, v0
	v_add_co_u32 v2, vcc_lo, v19, v2
	s_waitcnt lgkmcnt(2)
	global_store_dword v[10:11], v4, off
	v_add_nc_u32_e32 v10, 0xd8, v0
	v_mov_b32_e32 v11, v1
	v_lshlrev_b64 v[8:9], 2, v[8:9]
	v_add_co_ci_u32_e32 v3, vcc_lo, v20, v3, vcc_lo
	v_add_co_u32 v6, vcc_lo, v19, v6
	v_lshlrev_b64 v[10:11], 2, v[10:11]
	v_add_co_ci_u32_e32 v7, vcc_lo, v20, v7, vcc_lo
	v_add_co_u32 v8, vcc_lo, v19, v8
	v_add_co_ci_u32_e32 v9, vcc_lo, v20, v9, vcc_lo
	v_add_co_u32 v10, vcc_lo, v19, v10
	v_add_co_ci_u32_e32 v11, vcc_lo, v20, v11, vcc_lo
	v_mov_b32_e32 v17, v1
	global_store_dword v[2:3], v5, off
	s_waitcnt lgkmcnt(1)
	global_store_dword v[6:7], v12, off
	global_store_dword v[8:9], v13, off
	s_waitcnt lgkmcnt(0)
	global_store_dword v[10:11], v14, off
	v_add_nc_u32_e32 v12, 0x400, v18
	v_add_nc_u32_e32 v4, 0x144, v0
	v_mov_b32_e32 v5, v1
	v_lshlrev_b64 v[2:3], 2, v[16:17]
	v_add_nc_u32_e32 v6, 0x17a, v0
	v_mov_b32_e32 v7, v1
	ds_read2_b32 v[8:9], v12 offset0:68 offset1:122
	v_lshlrev_b64 v[4:5], 2, v[4:5]
	v_add_nc_u32_e32 v10, 0x1b0, v0
	v_mov_b32_e32 v11, v1
	ds_read2_b32 v[12:13], v12 offset0:176 offset1:230
	v_add_co_u32 v2, vcc_lo, v19, v2
	v_lshlrev_b64 v[6:7], 2, v[6:7]
	v_add_nc_u32_e32 v0, 0x1e6, v0
	v_add_co_ci_u32_e32 v3, vcc_lo, v20, v3, vcc_lo
	v_add_co_u32 v4, vcc_lo, v19, v4
	v_lshlrev_b64 v[10:11], 2, v[10:11]
	v_add_co_ci_u32_e32 v5, vcc_lo, v20, v5, vcc_lo
	v_add_co_u32 v6, vcc_lo, v19, v6
	v_lshlrev_b64 v[0:1], 2, v[0:1]
	v_add_co_ci_u32_e32 v7, vcc_lo, v20, v7, vcc_lo
	v_add_co_u32 v10, vcc_lo, v19, v10
	v_add_co_ci_u32_e32 v11, vcc_lo, v20, v11, vcc_lo
	v_add_co_u32 v0, vcc_lo, v19, v0
	v_add_co_ci_u32_e32 v1, vcc_lo, v20, v1, vcc_lo
	global_store_dword v[2:3], v15, off
	s_waitcnt lgkmcnt(1)
	global_store_dword v[4:5], v8, off
	global_store_dword v[6:7], v9, off
	s_waitcnt lgkmcnt(0)
	global_store_dword v[10:11], v12, off
	global_store_dword v[0:1], v13, off
.LBB0_29:
	s_endpgm
	.section	.rodata,"a",@progbits
	.p2align	6, 0x0
	.amdhsa_kernel fft_rtc_fwd_len540_factors_3_10_6_3_wgs_216_tpt_54_halfLds_half_ip_CI_unitstride_sbrr_C2R_dirReg
		.amdhsa_group_segment_fixed_size 0
		.amdhsa_private_segment_fixed_size 0
		.amdhsa_kernarg_size 88
		.amdhsa_user_sgpr_count 6
		.amdhsa_user_sgpr_private_segment_buffer 1
		.amdhsa_user_sgpr_dispatch_ptr 0
		.amdhsa_user_sgpr_queue_ptr 0
		.amdhsa_user_sgpr_kernarg_segment_ptr 1
		.amdhsa_user_sgpr_dispatch_id 0
		.amdhsa_user_sgpr_flat_scratch_init 0
		.amdhsa_user_sgpr_private_segment_size 0
		.amdhsa_wavefront_size32 1
		.amdhsa_uses_dynamic_stack 0
		.amdhsa_system_sgpr_private_segment_wavefront_offset 0
		.amdhsa_system_sgpr_workgroup_id_x 1
		.amdhsa_system_sgpr_workgroup_id_y 0
		.amdhsa_system_sgpr_workgroup_id_z 0
		.amdhsa_system_sgpr_workgroup_info 0
		.amdhsa_system_vgpr_workitem_id 0
		.amdhsa_next_free_vgpr 65
		.amdhsa_next_free_sgpr 21
		.amdhsa_reserve_vcc 1
		.amdhsa_reserve_flat_scratch 0
		.amdhsa_float_round_mode_32 0
		.amdhsa_float_round_mode_16_64 0
		.amdhsa_float_denorm_mode_32 3
		.amdhsa_float_denorm_mode_16_64 3
		.amdhsa_dx10_clamp 1
		.amdhsa_ieee_mode 1
		.amdhsa_fp16_overflow 0
		.amdhsa_workgroup_processor_mode 1
		.amdhsa_memory_ordered 1
		.amdhsa_forward_progress 0
		.amdhsa_shared_vgpr_count 0
		.amdhsa_exception_fp_ieee_invalid_op 0
		.amdhsa_exception_fp_denorm_src 0
		.amdhsa_exception_fp_ieee_div_zero 0
		.amdhsa_exception_fp_ieee_overflow 0
		.amdhsa_exception_fp_ieee_underflow 0
		.amdhsa_exception_fp_ieee_inexact 0
		.amdhsa_exception_int_div_zero 0
	.end_amdhsa_kernel
	.text
.Lfunc_end0:
	.size	fft_rtc_fwd_len540_factors_3_10_6_3_wgs_216_tpt_54_halfLds_half_ip_CI_unitstride_sbrr_C2R_dirReg, .Lfunc_end0-fft_rtc_fwd_len540_factors_3_10_6_3_wgs_216_tpt_54_halfLds_half_ip_CI_unitstride_sbrr_C2R_dirReg
                                        ; -- End function
	.section	.AMDGPU.csdata,"",@progbits
; Kernel info:
; codeLenInByte = 7456
; NumSgprs: 23
; NumVgprs: 65
; ScratchSize: 0
; MemoryBound: 0
; FloatMode: 240
; IeeeMode: 1
; LDSByteSize: 0 bytes/workgroup (compile time only)
; SGPRBlocks: 2
; VGPRBlocks: 8
; NumSGPRsForWavesPerEU: 23
; NumVGPRsForWavesPerEU: 65
; Occupancy: 12
; WaveLimiterHint : 1
; COMPUTE_PGM_RSRC2:SCRATCH_EN: 0
; COMPUTE_PGM_RSRC2:USER_SGPR: 6
; COMPUTE_PGM_RSRC2:TRAP_HANDLER: 0
; COMPUTE_PGM_RSRC2:TGID_X_EN: 1
; COMPUTE_PGM_RSRC2:TGID_Y_EN: 0
; COMPUTE_PGM_RSRC2:TGID_Z_EN: 0
; COMPUTE_PGM_RSRC2:TIDIG_COMP_CNT: 0
	.text
	.p2alignl 6, 3214868480
	.fill 48, 4, 3214868480
	.type	__hip_cuid_3866d792a878409e,@object ; @__hip_cuid_3866d792a878409e
	.section	.bss,"aw",@nobits
	.globl	__hip_cuid_3866d792a878409e
__hip_cuid_3866d792a878409e:
	.byte	0                               ; 0x0
	.size	__hip_cuid_3866d792a878409e, 1

	.ident	"AMD clang version 19.0.0git (https://github.com/RadeonOpenCompute/llvm-project roc-6.4.0 25133 c7fe45cf4b819c5991fe208aaa96edf142730f1d)"
	.section	".note.GNU-stack","",@progbits
	.addrsig
	.addrsig_sym __hip_cuid_3866d792a878409e
	.amdgpu_metadata
---
amdhsa.kernels:
  - .args:
      - .actual_access:  read_only
        .address_space:  global
        .offset:         0
        .size:           8
        .value_kind:     global_buffer
      - .offset:         8
        .size:           8
        .value_kind:     by_value
      - .actual_access:  read_only
        .address_space:  global
        .offset:         16
        .size:           8
        .value_kind:     global_buffer
      - .actual_access:  read_only
        .address_space:  global
        .offset:         24
        .size:           8
        .value_kind:     global_buffer
      - .offset:         32
        .size:           8
        .value_kind:     by_value
      - .actual_access:  read_only
        .address_space:  global
        .offset:         40
        .size:           8
        .value_kind:     global_buffer
      - .actual_access:  read_only
        .address_space:  global
        .offset:         48
        .size:           8
        .value_kind:     global_buffer
      - .offset:         56
        .size:           4
        .value_kind:     by_value
      - .actual_access:  read_only
        .address_space:  global
        .offset:         64
        .size:           8
        .value_kind:     global_buffer
      - .actual_access:  read_only
        .address_space:  global
        .offset:         72
        .size:           8
        .value_kind:     global_buffer
      - .address_space:  global
        .offset:         80
        .size:           8
        .value_kind:     global_buffer
    .group_segment_fixed_size: 0
    .kernarg_segment_align: 8
    .kernarg_segment_size: 88
    .language:       OpenCL C
    .language_version:
      - 2
      - 0
    .max_flat_workgroup_size: 216
    .name:           fft_rtc_fwd_len540_factors_3_10_6_3_wgs_216_tpt_54_halfLds_half_ip_CI_unitstride_sbrr_C2R_dirReg
    .private_segment_fixed_size: 0
    .sgpr_count:     23
    .sgpr_spill_count: 0
    .symbol:         fft_rtc_fwd_len540_factors_3_10_6_3_wgs_216_tpt_54_halfLds_half_ip_CI_unitstride_sbrr_C2R_dirReg.kd
    .uniform_work_group_size: 1
    .uses_dynamic_stack: false
    .vgpr_count:     65
    .vgpr_spill_count: 0
    .wavefront_size: 32
    .workgroup_processor_mode: 1
amdhsa.target:   amdgcn-amd-amdhsa--gfx1030
amdhsa.version:
  - 1
  - 2
...

	.end_amdgpu_metadata
